;; amdgpu-corpus repo=ROCm/rocFFT kind=compiled arch=gfx1030 opt=O3
	.text
	.amdgcn_target "amdgcn-amd-amdhsa--gfx1030"
	.amdhsa_code_object_version 6
	.protected	fft_rtc_back_len320_factors_10_4_4_2_wgs_64_tpt_16_halfLds_sp_ip_CI_unitstride_sbrr_C2R_dirReg ; -- Begin function fft_rtc_back_len320_factors_10_4_4_2_wgs_64_tpt_16_halfLds_sp_ip_CI_unitstride_sbrr_C2R_dirReg
	.globl	fft_rtc_back_len320_factors_10_4_4_2_wgs_64_tpt_16_halfLds_sp_ip_CI_unitstride_sbrr_C2R_dirReg
	.p2align	8
	.type	fft_rtc_back_len320_factors_10_4_4_2_wgs_64_tpt_16_halfLds_sp_ip_CI_unitstride_sbrr_C2R_dirReg,@function
fft_rtc_back_len320_factors_10_4_4_2_wgs_64_tpt_16_halfLds_sp_ip_CI_unitstride_sbrr_C2R_dirReg: ; @fft_rtc_back_len320_factors_10_4_4_2_wgs_64_tpt_16_halfLds_sp_ip_CI_unitstride_sbrr_C2R_dirReg
; %bb.0:
	s_clause 0x2
	s_load_dwordx4 s[8:11], s[4:5], 0x0
	s_load_dwordx2 s[2:3], s[4:5], 0x50
	s_load_dwordx2 s[12:13], s[4:5], 0x18
	v_lshrrev_b32_e32 v9, 4, v0
	v_mov_b32_e32 v3, 0
	v_mov_b32_e32 v1, 0
	;; [unrolled: 1-line block ×3, first 2 shown]
	v_lshl_or_b32 v5, s6, 2, v9
	v_mov_b32_e32 v6, v3
	s_waitcnt lgkmcnt(0)
	v_cmp_lt_u64_e64 s0, s[10:11], 2
	s_and_b32 vcc_lo, exec_lo, s0
	s_cbranch_vccnz .LBB0_8
; %bb.1:
	s_load_dwordx2 s[0:1], s[4:5], 0x10
	v_mov_b32_e32 v1, 0
	s_add_u32 s6, s12, 8
	v_mov_b32_e32 v2, 0
	s_addc_u32 s7, s13, 0
	s_mov_b64 s[16:17], 1
	s_waitcnt lgkmcnt(0)
	s_add_u32 s14, s0, 8
	s_addc_u32 s15, s1, 0
.LBB0_2:                                ; =>This Inner Loop Header: Depth=1
	s_load_dwordx2 s[18:19], s[14:15], 0x0
                                        ; implicit-def: $vgpr7_vgpr8
	s_mov_b32 s0, exec_lo
	s_waitcnt lgkmcnt(0)
	v_or_b32_e32 v4, s19, v6
	v_cmpx_ne_u64_e32 0, v[3:4]
	s_xor_b32 s1, exec_lo, s0
	s_cbranch_execz .LBB0_4
; %bb.3:                                ;   in Loop: Header=BB0_2 Depth=1
	v_cvt_f32_u32_e32 v4, s18
	v_cvt_f32_u32_e32 v7, s19
	s_sub_u32 s0, 0, s18
	s_subb_u32 s20, 0, s19
	v_fmac_f32_e32 v4, 0x4f800000, v7
	v_rcp_f32_e32 v4, v4
	v_mul_f32_e32 v4, 0x5f7ffffc, v4
	v_mul_f32_e32 v7, 0x2f800000, v4
	v_trunc_f32_e32 v7, v7
	v_fmac_f32_e32 v4, 0xcf800000, v7
	v_cvt_u32_f32_e32 v7, v7
	v_cvt_u32_f32_e32 v4, v4
	v_mul_lo_u32 v8, s0, v7
	v_mul_hi_u32 v10, s0, v4
	v_mul_lo_u32 v11, s20, v4
	v_add_nc_u32_e32 v8, v10, v8
	v_mul_lo_u32 v10, s0, v4
	v_add_nc_u32_e32 v8, v8, v11
	v_mul_hi_u32 v11, v4, v10
	v_mul_lo_u32 v12, v4, v8
	v_mul_hi_u32 v13, v4, v8
	v_mul_hi_u32 v14, v7, v10
	v_mul_lo_u32 v10, v7, v10
	v_mul_hi_u32 v15, v7, v8
	v_mul_lo_u32 v8, v7, v8
	v_add_co_u32 v11, vcc_lo, v11, v12
	v_add_co_ci_u32_e32 v12, vcc_lo, 0, v13, vcc_lo
	v_add_co_u32 v10, vcc_lo, v11, v10
	v_add_co_ci_u32_e32 v10, vcc_lo, v12, v14, vcc_lo
	v_add_co_ci_u32_e32 v11, vcc_lo, 0, v15, vcc_lo
	v_add_co_u32 v8, vcc_lo, v10, v8
	v_add_co_ci_u32_e32 v10, vcc_lo, 0, v11, vcc_lo
	v_add_co_u32 v4, vcc_lo, v4, v8
	v_add_co_ci_u32_e32 v7, vcc_lo, v7, v10, vcc_lo
	v_mul_hi_u32 v8, s0, v4
	v_mul_lo_u32 v11, s20, v4
	v_mul_lo_u32 v10, s0, v7
	v_add_nc_u32_e32 v8, v8, v10
	v_mul_lo_u32 v10, s0, v4
	v_add_nc_u32_e32 v8, v8, v11
	v_mul_hi_u32 v11, v4, v10
	v_mul_lo_u32 v12, v4, v8
	v_mul_hi_u32 v13, v4, v8
	v_mul_hi_u32 v14, v7, v10
	v_mul_lo_u32 v10, v7, v10
	v_mul_hi_u32 v15, v7, v8
	v_mul_lo_u32 v8, v7, v8
	v_add_co_u32 v11, vcc_lo, v11, v12
	v_add_co_ci_u32_e32 v12, vcc_lo, 0, v13, vcc_lo
	v_add_co_u32 v10, vcc_lo, v11, v10
	v_add_co_ci_u32_e32 v10, vcc_lo, v12, v14, vcc_lo
	v_add_co_ci_u32_e32 v11, vcc_lo, 0, v15, vcc_lo
	v_add_co_u32 v8, vcc_lo, v10, v8
	v_add_co_ci_u32_e32 v10, vcc_lo, 0, v11, vcc_lo
	v_add_co_u32 v4, vcc_lo, v4, v8
	v_add_co_ci_u32_e32 v12, vcc_lo, v7, v10, vcc_lo
	v_mul_hi_u32 v14, v5, v4
	v_mad_u64_u32 v[10:11], null, v6, v4, 0
	v_mad_u64_u32 v[7:8], null, v5, v12, 0
	;; [unrolled: 1-line block ×3, first 2 shown]
	v_add_co_u32 v4, vcc_lo, v14, v7
	v_add_co_ci_u32_e32 v7, vcc_lo, 0, v8, vcc_lo
	v_add_co_u32 v4, vcc_lo, v4, v10
	v_add_co_ci_u32_e32 v4, vcc_lo, v7, v11, vcc_lo
	v_add_co_ci_u32_e32 v7, vcc_lo, 0, v13, vcc_lo
	v_add_co_u32 v4, vcc_lo, v4, v12
	v_add_co_ci_u32_e32 v10, vcc_lo, 0, v7, vcc_lo
	v_mul_lo_u32 v11, s19, v4
	v_mad_u64_u32 v[7:8], null, s18, v4, 0
	v_mul_lo_u32 v12, s18, v10
	v_sub_co_u32 v7, vcc_lo, v5, v7
	v_add3_u32 v8, v8, v12, v11
	v_sub_nc_u32_e32 v11, v6, v8
	v_subrev_co_ci_u32_e64 v11, s0, s19, v11, vcc_lo
	v_add_co_u32 v12, s0, v4, 2
	v_add_co_ci_u32_e64 v13, s0, 0, v10, s0
	v_sub_co_u32 v14, s0, v7, s18
	v_sub_co_ci_u32_e32 v8, vcc_lo, v6, v8, vcc_lo
	v_subrev_co_ci_u32_e64 v11, s0, 0, v11, s0
	v_cmp_le_u32_e32 vcc_lo, s18, v14
	v_cmp_eq_u32_e64 s0, s19, v8
	v_cndmask_b32_e64 v14, 0, -1, vcc_lo
	v_cmp_le_u32_e32 vcc_lo, s19, v11
	v_cndmask_b32_e64 v15, 0, -1, vcc_lo
	v_cmp_le_u32_e32 vcc_lo, s18, v7
	;; [unrolled: 2-line block ×3, first 2 shown]
	v_cndmask_b32_e64 v16, 0, -1, vcc_lo
	v_cmp_eq_u32_e32 vcc_lo, s19, v11
	v_cndmask_b32_e64 v7, v16, v7, s0
	v_cndmask_b32_e32 v11, v15, v14, vcc_lo
	v_add_co_u32 v14, vcc_lo, v4, 1
	v_add_co_ci_u32_e32 v15, vcc_lo, 0, v10, vcc_lo
	v_cmp_ne_u32_e32 vcc_lo, 0, v11
	v_cndmask_b32_e32 v8, v15, v13, vcc_lo
	v_cndmask_b32_e32 v11, v14, v12, vcc_lo
	v_cmp_ne_u32_e32 vcc_lo, 0, v7
	v_cndmask_b32_e32 v8, v10, v8, vcc_lo
	v_cndmask_b32_e32 v7, v4, v11, vcc_lo
.LBB0_4:                                ;   in Loop: Header=BB0_2 Depth=1
	s_andn2_saveexec_b32 s0, s1
	s_cbranch_execz .LBB0_6
; %bb.5:                                ;   in Loop: Header=BB0_2 Depth=1
	v_cvt_f32_u32_e32 v4, s18
	s_sub_i32 s1, 0, s18
	v_rcp_iflag_f32_e32 v4, v4
	v_mul_f32_e32 v4, 0x4f7ffffe, v4
	v_cvt_u32_f32_e32 v4, v4
	v_mul_lo_u32 v7, s1, v4
	v_mul_hi_u32 v7, v4, v7
	v_add_nc_u32_e32 v4, v4, v7
	v_mul_hi_u32 v4, v5, v4
	v_mul_lo_u32 v7, v4, s18
	v_add_nc_u32_e32 v8, 1, v4
	v_sub_nc_u32_e32 v7, v5, v7
	v_subrev_nc_u32_e32 v10, s18, v7
	v_cmp_le_u32_e32 vcc_lo, s18, v7
	v_cndmask_b32_e32 v7, v7, v10, vcc_lo
	v_cndmask_b32_e32 v4, v4, v8, vcc_lo
	v_cmp_le_u32_e32 vcc_lo, s18, v7
	v_add_nc_u32_e32 v8, 1, v4
	v_cndmask_b32_e32 v7, v4, v8, vcc_lo
	v_mov_b32_e32 v8, v3
.LBB0_6:                                ;   in Loop: Header=BB0_2 Depth=1
	s_or_b32 exec_lo, exec_lo, s0
	s_load_dwordx2 s[0:1], s[6:7], 0x0
	v_mul_lo_u32 v4, v8, s18
	v_mul_lo_u32 v12, v7, s19
	v_mad_u64_u32 v[10:11], null, v7, s18, 0
	s_add_u32 s16, s16, 1
	s_addc_u32 s17, s17, 0
	s_add_u32 s6, s6, 8
	s_addc_u32 s7, s7, 0
	;; [unrolled: 2-line block ×3, first 2 shown]
	v_add3_u32 v4, v11, v12, v4
	v_sub_co_u32 v5, vcc_lo, v5, v10
	v_sub_co_ci_u32_e32 v4, vcc_lo, v6, v4, vcc_lo
	s_waitcnt lgkmcnt(0)
	v_mul_lo_u32 v6, s1, v5
	v_mul_lo_u32 v4, s0, v4
	v_mad_u64_u32 v[1:2], null, s0, v5, v[1:2]
	v_cmp_ge_u64_e64 s0, s[16:17], s[10:11]
	s_and_b32 vcc_lo, exec_lo, s0
	v_add3_u32 v2, v6, v2, v4
	s_cbranch_vccnz .LBB0_9
; %bb.7:                                ;   in Loop: Header=BB0_2 Depth=1
	v_mov_b32_e32 v5, v7
	v_mov_b32_e32 v6, v8
	s_branch .LBB0_2
.LBB0_8:
	v_mov_b32_e32 v8, v6
	v_mov_b32_e32 v7, v5
.LBB0_9:
	s_lshl_b64 s[0:1], s[10:11], 3
	s_add_u32 s0, s12, s0
	s_addc_u32 s1, s13, s1
	s_load_dwordx2 s[0:1], s[0:1], 0x0
	s_load_dwordx2 s[4:5], s[4:5], 0x20
	s_waitcnt lgkmcnt(0)
	v_mul_lo_u32 v3, s0, v8
	v_mul_lo_u32 v4, s1, v7
	v_mad_u64_u32 v[5:6], null, s0, v7, v[1:2]
	v_and_b32_e32 v2, 15, v0
	v_cmp_gt_u64_e32 vcc_lo, s[4:5], v[7:8]
	v_mov_b32_e32 v20, v2
	v_add3_u32 v6, v4, v6, v3
	v_mul_u32_u24_e32 v4, 0x141, v9
	v_lshlrev_b64 v[22:23], 3, v[5:6]
	v_lshlrev_b32_e32 v39, 3, v4
	s_and_saveexec_b32 s1, vcc_lo
	s_cbranch_execz .LBB0_13
; %bb.10:
	v_lshlrev_b32_e32 v6, 3, v2
	v_add_co_u32 v3, s0, s2, v22
	v_add_co_ci_u32_e64 v5, s0, s3, v23, s0
	v_or_b32_e32 v21, 0x800, v6
	v_add_co_u32 v0, s0, v3, v6
	v_or_b32_e32 v36, 0x880, v6
	v_add_co_ci_u32_e64 v1, s0, 0, v5, s0
	v_add_co_u32 v34, s0, v3, v21
	v_or_b32_e32 v21, 0x900, v6
	v_add_co_ci_u32_e64 v35, s0, 0, v5, s0
	;; [unrolled: 3-line block ×3, first 2 shown]
	v_add_co_u32 v40, s0, v3, v21
	v_add_co_ci_u32_e64 v41, s0, 0, v5, s0
	v_add_co_u32 v42, s0, v3, v38
	v_add_co_ci_u32_e64 v43, s0, 0, v5, s0
	s_clause 0x13
	global_load_dwordx2 v[7:8], v[0:1], off
	global_load_dwordx2 v[9:10], v[0:1], off offset:128
	global_load_dwordx2 v[11:12], v[0:1], off offset:256
	;; [unrolled: 1-line block ×15, first 2 shown]
	global_load_dwordx2 v[34:35], v[34:35], off
	global_load_dwordx2 v[36:37], v[36:37], off
	;; [unrolled: 1-line block ×4, first 2 shown]
	v_mov_b32_e32 v0, v2
	v_add3_u32 v6, 0, v39, v6
	v_mov_b32_e32 v1, v3
	s_mov_b32 s4, exec_lo
	v_add_nc_u32_e32 v21, 0x800, v6
	s_waitcnt vmcnt(18)
	ds_write2_b64 v6, v[7:8], v[9:10] offset1:16
	s_waitcnt vmcnt(16)
	ds_write2_b64 v6, v[11:12], v[13:14] offset0:32 offset1:48
	s_waitcnt vmcnt(14)
	ds_write2_b64 v6, v[15:16], v[17:18] offset0:64 offset1:80
	;; [unrolled: 2-line block ×7, first 2 shown]
	s_waitcnt vmcnt(2)
	ds_write2_b64 v21, v[34:35], v[36:37] offset1:16
	s_waitcnt vmcnt(0)
	ds_write2_b64 v21, v[40:41], v[42:43] offset0:32 offset1:48
	v_cmpx_eq_u32_e32 15, v2
	s_cbranch_execz .LBB0_12
; %bb.11:
	v_add_co_u32 v0, s0, 0x800, v3
	v_add_co_ci_u32_e64 v1, s0, 0, v5, s0
	v_mov_b32_e32 v2, 15
	global_load_dwordx2 v[7:8], v[0:1], off offset:512
	v_mov_b32_e32 v0, 15
	v_mov_b32_e32 v1, 0
	s_waitcnt vmcnt(0)
	ds_write_b64 v6, v[7:8] offset:2440
.LBB0_12:
	s_or_b32 exec_lo, exec_lo, s4
	v_mov_b32_e32 v20, v2
	v_mov_b32_e32 v3, v1
	;; [unrolled: 1-line block ×3, first 2 shown]
.LBB0_13:
	s_or_b32 exec_lo, exec_lo, s1
	v_lshl_add_u32 v21, v4, 3, 0
	v_lshlrev_b32_e32 v37, 3, v20
	s_waitcnt lgkmcnt(0)
	s_barrier
	buffer_gl0_inv
	v_cmp_ne_u32_e64 s0, 0, v20
	v_add_nc_u32_e32 v36, v21, v37
	v_sub_nc_u32_e32 v6, v21, v37
	v_lshlrev_b32_e32 v38, 3, v2
	s_add_u32 s4, s8, 0x9b0
	ds_read_b32 v3, v36
	ds_read_b32 v4, v6 offset:2560
	s_addc_u32 s5, s9, 0
	s_waitcnt lgkmcnt(0)
	v_add_f32_e32 v0, v4, v3
	v_sub_f32_e32 v1, v3, v4
	s_and_saveexec_b32 s1, s0
	s_xor_b32 s0, exec_lo, s1
	s_cbranch_execz .LBB0_15
; %bb.14:
	global_load_dwordx2 v[7:8], v38, s[4:5]
	ds_read_b32 v0, v6 offset:2564
	ds_read_b32 v1, v36 offset:4
	v_add_f32_e32 v2, v4, v3
	v_sub_f32_e32 v4, v3, v4
	s_waitcnt lgkmcnt(0)
	v_add_f32_e32 v5, v0, v1
	v_sub_f32_e32 v0, v1, v0
	s_waitcnt vmcnt(0)
	v_fma_f32 v9, v4, v8, v2
	v_fma_f32 v2, -v4, v8, v2
	v_fma_f32 v3, v5, v8, -v0
	v_fma_f32 v1, v5, v8, v0
	v_fma_f32 v0, -v7, v5, v9
	v_fmac_f32_e32 v2, v7, v5
	v_fmac_f32_e32 v3, v4, v7
	;; [unrolled: 1-line block ×3, first 2 shown]
	ds_write_b64 v6, v[2:3] offset:2560
.LBB0_15:
	s_andn2_saveexec_b32 s0, s0
	s_cbranch_execz .LBB0_17
; %bb.16:
	ds_read_b64 v[2:3], v21 offset:1280
	s_waitcnt lgkmcnt(0)
	v_add_f32_e32 v2, v2, v2
	v_mul_f32_e32 v3, -2.0, v3
	ds_write_b64 v21, v[2:3] offset:1280
.LBB0_17:
	s_or_b32 exec_lo, exec_lo, s0
	s_clause 0x6
	global_load_dwordx2 v[2:3], v37, s[4:5] offset:128
	global_load_dwordx2 v[4:5], v37, s[4:5] offset:256
	;; [unrolled: 1-line block ×7, first 2 shown]
	ds_write_b64 v36, v[0:1]
	ds_read_b64 v[0:1], v36 offset:128
	ds_read_b64 v[17:18], v6 offset:2432
	global_load_dwordx2 v[24:25], v37, s[4:5] offset:1024
	v_cmp_gt_u32_e64 s0, 10, v20
	v_or_b32_e32 v43, 32, v20
	v_add3_u32 v40, 0, v37, v39
	v_or_b32_e32 v65, 64, v20
	v_mov_b32_e32 v44, 3
	v_add_nc_u32_e32 v41, 0x800, v40
	v_mul_lo_u16 v29, 0x67, v65
	v_add_nc_u32_e32 v42, 0x400, v40
	v_lshrrev_b16 v52, 10, v29
	s_waitcnt lgkmcnt(0)
	v_add_f32_e32 v19, v0, v17
	v_add_f32_e32 v26, v18, v1
	v_sub_f32_e32 v27, v0, v17
	v_sub_f32_e32 v0, v1, v18
	s_waitcnt vmcnt(7)
	v_fma_f32 v28, v27, v3, v19
	v_fma_f32 v1, v26, v3, v0
	v_fma_f32 v17, -v27, v3, v19
	v_fma_f32 v18, v26, v3, -v0
	v_fma_f32 v0, -v2, v26, v28
	v_fmac_f32_e32 v1, v27, v2
	v_fmac_f32_e32 v17, v2, v26
	;; [unrolled: 1-line block ×3, first 2 shown]
	ds_write_b64 v36, v[0:1] offset:128
	ds_write_b64 v6, v[17:18] offset:2432
	ds_read_b64 v[2:3], v36 offset:256
	ds_read_b64 v[17:18], v6 offset:2304
	global_load_dwordx2 v[0:1], v37, s[4:5] offset:1152
	s_waitcnt lgkmcnt(0)
	v_add_f32_e32 v19, v2, v17
	v_add_f32_e32 v26, v18, v3
	v_sub_f32_e32 v27, v2, v17
	v_sub_f32_e32 v2, v3, v18
	s_waitcnt vmcnt(7)
	v_fma_f32 v28, v27, v5, v19
	v_fma_f32 v3, v26, v5, v2
	v_fma_f32 v17, -v27, v5, v19
	v_fma_f32 v18, v26, v5, -v2
	v_fma_f32 v2, -v4, v26, v28
	v_fmac_f32_e32 v3, v27, v4
	v_fmac_f32_e32 v17, v4, v26
	v_fmac_f32_e32 v18, v27, v4
	ds_write_b64 v36, v[2:3] offset:256
	ds_write_b64 v6, v[17:18] offset:2304
	ds_read_b64 v[2:3], v36 offset:384
	ds_read_b64 v[4:5], v6 offset:2176
	v_or_b32_e32 v27, 48, v20
	s_waitcnt lgkmcnt(0)
	v_add_f32_e32 v17, v2, v4
	v_add_f32_e32 v18, v5, v3
	v_sub_f32_e32 v19, v2, v4
	v_sub_f32_e32 v2, v3, v5
	s_waitcnt vmcnt(6)
	v_fma_f32 v26, v19, v8, v17
	v_fma_f32 v3, v18, v8, v2
	v_fma_f32 v4, -v19, v8, v17
	v_fma_f32 v5, v18, v8, -v2
	v_fma_f32 v2, -v7, v18, v26
	v_fmac_f32_e32 v3, v19, v7
	v_fmac_f32_e32 v4, v7, v18
	;; [unrolled: 1-line block ×3, first 2 shown]
	ds_write_b64 v36, v[2:3] offset:384
	ds_write_b64 v6, v[4:5] offset:2176
	ds_read_b64 v[2:3], v36 offset:512
	ds_read_b64 v[4:5], v6 offset:2048
	v_or_b32_e32 v26, 16, v20
	s_waitcnt lgkmcnt(0)
	v_add_f32_e32 v7, v2, v4
	v_add_f32_e32 v8, v5, v3
	v_sub_f32_e32 v17, v2, v4
	v_sub_f32_e32 v2, v3, v5
	s_waitcnt vmcnt(5)
	v_fma_f32 v18, v17, v10, v7
	v_fma_f32 v3, v8, v10, v2
	v_fma_f32 v4, -v17, v10, v7
	v_fma_f32 v5, v8, v10, -v2
	v_fma_f32 v2, -v9, v8, v18
	v_fmac_f32_e32 v3, v17, v9
	v_fmac_f32_e32 v4, v9, v8
	v_fmac_f32_e32 v5, v17, v9
	ds_write_b64 v36, v[2:3] offset:512
	ds_write_b64 v6, v[4:5] offset:2048
	ds_read_b64 v[2:3], v36 offset:640
	ds_read_b64 v[4:5], v6 offset:1920
	s_waitcnt lgkmcnt(0)
	v_add_f32_e32 v7, v2, v4
	v_add_f32_e32 v8, v5, v3
	v_sub_f32_e32 v9, v2, v4
	v_sub_f32_e32 v2, v3, v5
	s_waitcnt vmcnt(4)
	v_fma_f32 v10, v9, v12, v7
	v_fma_f32 v3, v8, v12, v2
	v_fma_f32 v4, -v9, v12, v7
	v_fma_f32 v5, v8, v12, -v2
	v_fma_f32 v2, -v11, v8, v10
	v_fmac_f32_e32 v3, v9, v11
	v_fmac_f32_e32 v4, v11, v8
	v_fmac_f32_e32 v5, v9, v11
	ds_write_b64 v36, v[2:3] offset:640
	ds_write_b64 v6, v[4:5] offset:1920
	ds_read_b64 v[2:3], v36 offset:768
	ds_read_b64 v[4:5], v6 offset:1792
	;; [unrolled: 18-line block ×4, first 2 shown]
	s_waitcnt lgkmcnt(0)
	v_add_f32_e32 v7, v2, v4
	v_add_f32_e32 v8, v5, v3
	v_sub_f32_e32 v9, v2, v4
	v_sub_f32_e32 v2, v3, v5
	s_waitcnt vmcnt(1)
	v_fma_f32 v10, v9, v25, v7
	v_fma_f32 v3, v8, v25, v2
	v_fma_f32 v4, -v9, v25, v7
	v_fma_f32 v5, v8, v25, -v2
	v_add_nc_u32_e32 v7, -10, v20
	v_fma_f32 v2, -v24, v8, v10
	v_fmac_f32_e32 v3, v9, v24
	v_fmac_f32_e32 v4, v24, v8
	;; [unrolled: 1-line block ×3, first 2 shown]
	ds_write_b64 v36, v[2:3] offset:1024
	ds_write_b64 v6, v[4:5] offset:1536
	ds_read_b64 v[2:3], v36 offset:1152
	ds_read_b64 v[4:5], v6 offset:1408
	v_mul_u32_u24_e32 v8, 10, v20
	v_cndmask_b32_e64 v48, v7, v20, s0
	v_mul_lo_u16 v24, v27, 26
	v_mov_b32_e32 v25, 0
	v_lshlrev_b32_e32 v28, 3, v8
	v_mul_lo_u16 v8, v43, 26
	v_lshrrev_b16 v51, 8, v24
	v_mul_i32_i24_e32 v24, 3, v48
	v_add3_u32 v66, 0, v28, v39
	v_lshrrev_b16 v50, 8, v8
	v_mul_lo_u16 v31, v51, 10
	v_lshlrev_b64 v[34:35], 3, v[24:25]
	v_and_b32_e32 v51, 0xffff, v51
	v_mul_lo_u16 v30, v50, 10
	v_sub_nc_u16 v45, v27, v31
	v_and_b32_e32 v50, 0xffff, v50
	s_waitcnt lgkmcnt(0)
	v_add_f32_e32 v7, v2, v4
	v_add_f32_e32 v9, v5, v3
	v_sub_f32_e32 v10, v2, v4
	v_sub_f32_e32 v4, v3, v5
	v_mul_lo_u16 v5, v26, 26
	v_sub_nc_u16 v47, v43, v30
	v_lshrrev_b16 v49, 8, v5
	v_mul_u32_u24_sdwa v109, v47, v44 dst_sel:DWORD dst_unused:UNUSED_PAD src0_sel:BYTE_0 src1_sel:DWORD
	v_mul_lo_u16 v28, v49, 10
	v_and_b32_e32 v49, 0xffff, v49
	v_sub_nc_u16 v46, v26, v28
	s_waitcnt vmcnt(0)
	v_fma_f32 v11, v10, v1, v7
	v_fma_f32 v2, v9, v1, v4
	v_fma_f32 v3, -v10, v1, v7
	v_fma_f32 v4, v9, v1, -v4
	v_fma_f32 v1, -v0, v9, v11
	v_fmac_f32_e32 v2, v10, v0
	v_fmac_f32_e32 v3, v0, v9
	v_fmac_f32_e32 v4, v10, v0
	ds_write_b64 v36, v[1:2] offset:1152
	ds_write_b64 v6, v[3:4] offset:1408
	s_waitcnt lgkmcnt(0)
	s_barrier
	buffer_gl0_inv
	s_barrier
	buffer_gl0_inv
	ds_read2_b64 v[0:3], v40 offset0:16 offset1:32
	ds_read2_b64 v[4:7], v40 offset0:80 offset1:96
	;; [unrolled: 1-line block ×9, first 2 shown]
	ds_read_b64 v[61:62], v36
	ds_read_b64 v[63:64], v40 offset:2432
	s_waitcnt lgkmcnt(0)
	s_barrier
	buffer_gl0_inv
	v_add_f32_e32 v24, v2, v6
	v_add_f32_e32 v75, v3, v7
	;; [unrolled: 1-line block ×4, first 2 shown]
	v_sub_f32_e32 v68, v7, v19
	v_sub_f32_e32 v69, v11, v15
	;; [unrolled: 1-line block ×4, first 2 shown]
	v_add_f32_e32 v76, v11, v15
	v_sub_f32_e32 v77, v10, v14
	v_sub_f32_e32 v78, v7, v11
	v_add_f32_e32 v80, v7, v19
	v_sub_f32_e32 v7, v11, v7
	v_add_f32_e32 v88, v9, v13
	v_sub_f32_e32 v90, v5, v9
	v_sub_f32_e32 v91, v9, v5
	;; [unrolled: 1-line block ×3, first 2 shown]
	v_add_f32_e32 v5, v5, v17
	v_add_f32_e32 v10, v24, v10
	;; [unrolled: 1-line block ×4, first 2 shown]
	v_sub_f32_e32 v84, v9, v13
	v_add_f32_e32 v98, v61, v28
	v_add_f32_e32 v9, v87, v9
	v_sub_f32_e32 v71, v18, v14
	v_sub_f32_e32 v74, v14, v18
	;; [unrolled: 1-line block ×5, first 2 shown]
	v_add_f32_e32 v100, v26, v30
	v_sub_f32_e32 v106, v30, v53
	v_sub_f32_e32 v107, v53, v30
	;; [unrolled: 1-line block ×3, first 2 shown]
	v_add_f32_e32 v10, v10, v14
	v_add_f32_e32 v11, v11, v15
	;; [unrolled: 1-line block ×3, first 2 shown]
	v_sub_f32_e32 v15, v30, v63
	v_add_co_u32 v30, s0, s8, v34
	v_sub_f32_e32 v34, v58, v64
	v_fma_f32 v88, -0.5, v88, v1
	v_fmac_f32_e32 v1, -0.5, v5
	v_sub_f32_e32 v5, v57, v63
	v_add_f32_e32 v83, v8, v12
	v_sub_f32_e32 v85, v4, v8
	v_sub_f32_e32 v86, v8, v4
	;; [unrolled: 1-line block ×4, first 2 shown]
	v_add_f32_e32 v101, v27, v31
	v_add_f32_e32 v102, v32, v55
	v_sub_f32_e32 v105, v32, v55
	v_sub_f32_e32 v108, v31, v54
	v_add_f32_e32 v8, v82, v8
	v_sub_f32_e32 v75, v28, v32
	v_sub_f32_e32 v82, v32, v28
	v_add_f32_e32 v9, v9, v13
	v_sub_f32_e32 v13, v31, v64
	v_add_f32_e32 v32, v98, v32
	v_add_f32_e32 v98, v31, v64
	v_add_co_ci_u32_e64 v31, s0, s9, v35, s0
	v_mul_u32_u24_sdwa v35, v46, v44 dst_sel:DWORD dst_unused:UNUSED_PAD src0_sel:BYTE_0 src1_sel:DWORD
	v_add_f32_e32 v104, v33, v56
	v_add_f32_e32 v24, v24, v34
	;; [unrolled: 1-line block ×5, first 2 shown]
	v_lshlrev_b32_e32 v110, 3, v35
	v_sub_f32_e32 v35, v55, v59
	v_add_f32_e32 v99, v62, v29
	v_fma_f32 v97, -0.5, v104, v62
	v_fmac_f32_e32 v62, -0.5, v5
	v_sub_f32_e32 v5, v59, v55
	v_sub_f32_e32 v94, v16, v12
	;; [unrolled: 1-line block ×3, first 2 shown]
	v_add_f32_e32 v8, v8, v12
	v_sub_f32_e32 v12, v33, v29
	v_add_f32_e32 v35, v82, v35
	v_sub_f32_e32 v82, v56, v60
	;; [unrolled: 2-line block ×3, first 2 shown]
	v_sub_f32_e32 v87, v29, v33
	v_add_f32_e32 v33, v99, v33
	v_add_f32_e32 v99, v54, v58
	;; [unrolled: 1-line block ×5, first 2 shown]
	v_sub_f32_e32 v5, v53, v57
	v_add_f32_e32 v53, v100, v53
	v_sub_f32_e32 v6, v6, v18
	v_fma_f32 v76, -0.5, v76, v3
	v_fma_f32 v67, -0.5, v67, v2
	v_add_f32_e32 v12, v12, v82
	v_sub_f32_e32 v82, v60, v56
	v_add_f32_e32 v81, v7, v81
	v_sub_f32_e32 v7, v54, v58
	v_add_f32_e32 v54, v101, v54
	v_fma_f32 v80, -0.5, v80, v3
	v_add_f32_e32 v70, v70, v71
	v_add_f32_e32 v71, v28, v59
	v_fma_f32 v99, -0.5, v99, v27
	v_fma_f32 v72, -0.5, v72, v2
	v_add_f32_e32 v2, v32, v55
	v_add_f32_e32 v32, v53, v57
	;; [unrolled: 1-line block ×3, first 2 shown]
	v_sub_f32_e32 v4, v4, v16
	v_fmac_f32_e32 v27, -0.5, v98
	v_fma_f32 v74, -0.5, v74, v26
	v_fma_f32 v14, -0.5, v14, v26
	v_add_f32_e32 v26, v90, v96
	v_fmamk_f32 v90, v6, 0x3f737871, v76
	v_add_f32_e32 v9, v9, v17
	v_fmamk_f32 v17, v68, 0xbf737871, v67
	v_add_f32_e32 v82, v87, v82
	v_sub_f32_e32 v87, v64, v58
	v_add_f32_e32 v3, v33, v56
	v_add_f32_e32 v33, v54, v58
	v_fmamk_f32 v58, v77, 0xbf737871, v80
	v_fmac_f32_e32 v80, 0x3f737871, v77
	v_fma_f32 v71, -0.5, v71, v61
	v_fmac_f32_e32 v76, 0xbf737871, v6
	v_add_f32_e32 v78, v78, v79
	v_add_f32_e32 v79, v85, v94
	v_sub_f32_e32 v85, v63, v57
	v_add_f32_e32 v32, v32, v63
	v_fmamk_f32 v63, v15, 0x3f737871, v99
	v_sub_f32_e32 v29, v29, v60
	v_sub_f32_e32 v28, v28, v59
	v_add_f32_e32 v86, v86, v95
	v_fma_f32 v61, -0.5, v102, v61
	v_fmamk_f32 v53, v5, 0xbf737871, v27
	v_fmac_f32_e32 v27, 0x3f737871, v5
	v_add_f32_e32 v10, v10, v18
	v_add_f32_e32 v18, v2, v59
	v_fmamk_f32 v59, v4, 0x3f737871, v88
	v_fmac_f32_e32 v88, 0xbf737871, v4
	v_fmamk_f32 v95, v13, 0xbf737871, v74
	v_fmac_f32_e32 v99, 0xbf737871, v15
	v_fmac_f32_e32 v90, 0x3f167918, v77
	;; [unrolled: 1-line block ×3, first 2 shown]
	v_fmamk_f32 v56, v105, 0xbf737871, v62
	v_fmac_f32_e32 v62, 0x3f737871, v105
	v_add_f32_e32 v8, v8, v16
	v_fmamk_f32 v16, v69, 0x3f737871, v72
	v_fmac_f32_e32 v72, 0xbf737871, v69
	v_fmac_f32_e32 v80, 0xbf167918, v6
	;; [unrolled: 1-line block ×3, first 2 shown]
	v_fmamk_f32 v54, v103, 0x3f737871, v71
	v_fmac_f32_e32 v71, 0xbf737871, v103
	v_add_f32_e32 v11, v11, v19
	v_fmac_f32_e32 v67, 0x3f737871, v68
	v_add_f32_e32 v19, v3, v60
	v_fmamk_f32 v60, v89, 0xbf737871, v1
	v_fmac_f32_e32 v1, 0x3f737871, v89
	v_fmac_f32_e32 v76, 0xbf167918, v77
	v_add_f32_e32 v87, v108, v87
	v_fma_f32 v83, -0.5, v83, v0
	v_fmac_f32_e32 v63, 0x3f167918, v5
	v_add_f32_e32 v85, v106, v85
	v_fma_f32 v0, -0.5, v93, v0
	v_fmamk_f32 v55, v29, 0xbf737871, v61
	v_fmamk_f32 v57, v28, 0x3f737871, v97
	v_fmac_f32_e32 v74, 0x3f737871, v13
	v_fmamk_f32 v96, v7, 0x3f737871, v14
	v_fmac_f32_e32 v14, 0xbf737871, v7
	v_fmac_f32_e32 v27, 0xbf167918, v15
	;; [unrolled: 1-line block ×23, first 2 shown]
	v_fmamk_f32 v93, v92, 0xbf737871, v83
	v_fmac_f32_e32 v63, 0x3e9e377a, v87
	v_fmac_f32_e32 v83, 0x3f737871, v92
	v_fmamk_f32 v94, v84, 0x3f737871, v0
	v_fmac_f32_e32 v0, 0xbf737871, v84
	v_fmac_f32_e32 v55, 0xbf167918, v103
	;; [unrolled: 1-line block ×7, first 2 shown]
	v_add_f32_e32 v3, v19, v11
	v_sub_f32_e32 v5, v19, v11
	v_fmac_f32_e32 v59, 0x3e9e377a, v26
	v_fmac_f32_e32 v88, 0x3e9e377a, v26
	;; [unrolled: 1-line block ×5, first 2 shown]
	v_mul_f32_e32 v19, 0xbf167918, v90
	v_mul_f32_e32 v26, 0x3f167918, v17
	v_add_f32_e32 v2, v18, v10
	v_sub_f32_e32 v4, v18, v10
	v_fmac_f32_e32 v62, 0x3e9e377a, v12
	v_fmac_f32_e32 v56, 0x3e9e377a, v12
	;; [unrolled: 1-line block ×4, first 2 shown]
	v_mul_f32_e32 v18, 0xbf737871, v80
	v_mul_f32_e32 v12, 0xbe9e377a, v80
	;; [unrolled: 1-line block ×4, first 2 shown]
	v_fmac_f32_e32 v61, 0x3f167918, v103
	v_fmac_f32_e32 v97, 0xbf167918, v105
	;; [unrolled: 1-line block ×7, first 2 shown]
	v_mul_f32_e32 v34, 0xbf167918, v76
	v_mul_f32_e32 v35, 0xbf4f1bbd, v76
	v_fmac_f32_e32 v93, 0xbf167918, v84
	v_mul_f32_e32 v58, 0xbf167918, v63
	v_add_f32_e32 v33, v33, v64
	v_fmac_f32_e32 v83, 0x3f167918, v84
	v_fmac_f32_e32 v94, 0xbf167918, v92
	;; [unrolled: 1-line block ×8, first 2 shown]
	v_mul_f32_e32 v24, 0xbf737871, v27
	v_mul_f32_e32 v10, 0xbe9e377a, v27
	;; [unrolled: 1-line block ×7, first 2 shown]
	v_fmac_f32_e32 v19, 0x3f4f1bbd, v17
	v_fmac_f32_e32 v26, 0x3f4f1bbd, v90
	;; [unrolled: 1-line block ×12, first 2 shown]
	v_mul_lo_u16 v98, v52, 10
	v_fmac_f32_e32 v83, 0x3e9e377a, v79
	v_fmac_f32_e32 v94, 0x3e9e377a, v86
	v_fmac_f32_e32 v0, 0x3e9e377a, v86
	v_fmac_f32_e32 v10, 0x3f737871, v14
	v_fmac_f32_e32 v24, 0xbe9e377a, v14
	v_fmac_f32_e32 v64, 0x3f4f1bbd, v63
	v_fmac_f32_e32 v68, 0x3e9e377a, v96
	v_fmac_f32_e32 v69, 0x3f737871, v96
	v_fmac_f32_e32 v70, 0xbf4f1bbd, v74
	v_fmac_f32_e32 v73, 0x3f167918, v74
	v_add_f32_e32 v16, v55, v19
	v_add_f32_e32 v17, v57, v26
	;; [unrolled: 1-line block ×3, first 2 shown]
	v_sub_f32_e32 v15, v62, v12
	v_add_f32_e32 v12, v71, v18
	v_sub_f32_e32 v14, v71, v18
	v_sub_f32_e32 v18, v55, v19
	v_sub_f32_e32 v19, v57, v26
	v_add_f32_e32 v26, v54, v28
	v_add_f32_e32 v27, v56, v29
	;; [unrolled: 1-line block ×4, first 2 shown]
	v_sub_f32_e32 v8, v8, v32
	v_sub_f32_e32 v9, v9, v33
	v_add_f32_e32 v32, v61, v34
	v_add_f32_e32 v33, v97, v35
	v_sub_f32_e32 v28, v54, v28
	v_sub_f32_e32 v29, v56, v29
	;; [unrolled: 1-line block ×4, first 2 shown]
	v_add_f32_e32 v53, v93, v58
	v_add_f32_e32 v11, v1, v10
	v_sub_f32_e32 v1, v1, v10
	v_add_f32_e32 v10, v0, v24
	v_sub_f32_e32 v0, v0, v24
	;; [unrolled: 2-line block ×3, first 2 shown]
	v_sub_f32_e32 v56, v59, v64
	v_add_f32_e32 v57, v94, v68
	v_add_f32_e32 v58, v60, v69
	v_sub_f32_e32 v59, v94, v68
	v_sub_f32_e32 v60, v60, v69
	v_add_f32_e32 v61, v83, v70
	v_add_f32_e32 v62, v88, v73
	v_sub_f32_e32 v63, v83, v70
	v_sub_f32_e32 v64, v88, v73
	ds_write2_b64 v66, v[2:3], v[16:17] offset1:1
	ds_write2_b64 v66, v[26:27], v[12:13] offset0:2 offset1:3
	ds_write2_b64 v66, v[32:33], v[4:5] offset0:4 offset1:5
	;; [unrolled: 1-line block ×9, first 2 shown]
	v_sub_nc_u16 v53, v65, v98
	v_mul_u32_u24_sdwa v4, v45, v44 dst_sel:DWORD dst_unused:UNUSED_PAD src0_sel:BYTE_0 src1_sel:DWORD
	v_lshlrev_b32_e32 v24, 3, v109
	s_waitcnt lgkmcnt(0)
	s_barrier
	buffer_gl0_inv
	s_clause 0x1
	global_load_dwordx4 v[16:19], v[30:31], off
	global_load_dwordx4 v[0:3], v110, s[8:9]
	v_mul_u32_u24_sdwa v8, v53, v44 dst_sel:DWORD dst_unused:UNUSED_PAD src0_sel:BYTE_0 src1_sel:DWORD
	v_lshlrev_b32_e32 v32, 3, v4
	global_load_dwordx4 v[4:7], v24, s[8:9]
	v_cmp_lt_u32_e64 s0, 9, v20
	v_add_nc_u32_e32 v55, -8, v20
	v_lshlrev_b32_e32 v33, 3, v8
	s_clause 0x6
	global_load_dwordx4 v[8:11], v32, s[8:9]
	global_load_dwordx4 v[12:15], v33, s[8:9]
	global_load_dwordx2 v[30:31], v[30:31], off offset:16
	global_load_dwordx2 v[28:29], v110, s[8:9] offset:16
	global_load_dwordx2 v[26:27], v24, s[8:9] offset:16
	;; [unrolled: 1-line block ×4, first 2 shown]
	v_cndmask_b32_e64 v24, 0, 0x140, s0
	v_cmp_gt_u32_e64 s0, 40, v43
	v_lshlrev_b32_e32 v56, 3, v48
	v_mul_u32_u24_e32 v54, 3, v20
	v_and_b32_e32 v52, 0xffff, v52
	v_add_nc_u32_e32 v24, 0, v24
	v_cndmask_b32_e64 v48, v55, v43, s0
	v_mad_u32_u24 v59, 0x140, v50, 0
	v_lshlrev_b32_e32 v88, 3, v54
	v_mad_u32_u24 v58, 0x140, v49, 0
	v_add3_u32 v89, v24, v56, v39
	v_mul_i32_i24_e32 v24, 3, v48
	v_mad_u32_u24 v60, 0x140, v51, 0
	v_mad_u32_u24 v61, 0x140, v52, 0
	ds_read2_b64 v[49:52], v40 offset0:80 offset1:96
	ds_read2_b64 v[54:57], v40 offset0:144 offset1:160
	v_lshlrev_b64 v[82:83], 3, v[24:25]
	v_lshlrev_b32_sdwa v24, v44, v46 dst_sel:DWORD dst_unused:UNUSED_PAD src0_sel:DWORD src1_sel:BYTE_0
	v_lshlrev_b32_sdwa v46, v44, v47 dst_sel:DWORD dst_unused:UNUSED_PAD src0_sel:DWORD src1_sel:BYTE_0
	;; [unrolled: 1-line block ×4, first 2 shown]
	v_add3_u32 v24, v58, v24, v39
	v_add3_u32 v90, v59, v46, v39
	ds_read2_b64 v[44:47], v40 offset0:176 offset1:192
	v_add3_u32 v91, v60, v62, v39
	v_add3_u32 v92, v61, v53, v39
	ds_read2_b64 v[58:61], v40 offset0:112 offset1:128
	ds_read2_b64 v[62:65], v40 offset0:208 offset1:224
	ds_read2_b64 v[66:69], v42 offset0:112 offset1:128
	ds_read2_b64 v[70:73], v41 offset0:16 offset1:32
	ds_read2_b64 v[74:77], v40 offset0:16 offset1:32
	ds_read2_b64 v[78:81], v40 offset0:48 offset1:64
	ds_read_b64 v[84:85], v40 offset:2432
	ds_read_b64 v[86:87], v36
	s_waitcnt vmcnt(0) lgkmcnt(0)
	s_barrier
	buffer_gl0_inv
	v_mul_f32_e32 v53, v17, v50
	v_mul_f32_e32 v17, v17, v49
	;; [unrolled: 1-line block ×10, first 2 shown]
	v_fmac_f32_e32 v53, v16, v49
	v_fma_f32 v16, v16, v50, -v17
	v_fma_f32 v17, v57, v18, -v19
	v_mul_f32_e32 v19, v67, v31
	v_fmac_f32_e32 v94, v51, v0
	v_fma_f32 v49, v52, v0, -v1
	v_mul_f32_e32 v0, v66, v31
	v_mul_f32_e32 v97, v59, v5
	;; [unrolled: 1-line block ×7, first 2 shown]
	v_fmac_f32_e32 v93, v56, v18
	v_mul_f32_e32 v18, v65, v15
	v_mul_f32_e32 v15, v64, v15
	;; [unrolled: 1-line block ×3, first 2 shown]
	v_fmac_f32_e32 v95, v44, v2
	v_fma_f32 v2, v45, v2, -v3
	v_mul_f32_e32 v3, v70, v27
	v_mul_f32_e32 v98, v61, v9
	;; [unrolled: 1-line block ×8, first 2 shown]
	v_fmac_f32_e32 v96, v46, v6
	v_fma_f32 v6, v47, v6, -v7
	v_mul_f32_e32 v7, v84, v33
	v_fmac_f32_e32 v19, v66, v30
	v_fma_f32 v0, v67, v30, -v0
	v_fmac_f32_e32 v97, v58, v4
	v_fma_f32 v4, v59, v4, -v5
	v_fma_f32 v5, v63, v10, -v11
	v_fmac_f32_e32 v1, v68, v28
	v_fma_f32 v11, v69, v28, -v29
	v_fmac_f32_e32 v99, v62, v10
	;; [unrolled: 2-line block ×6, first 2 shown]
	v_fmac_f32_e32 v27, v72, v34
	v_fma_f32 v12, v73, v34, -v35
	v_fmac_f32_e32 v44, v84, v32
	v_fma_f32 v7, v85, v32, -v7
	v_sub_f32_e32 v28, v75, v2
	v_sub_f32_e32 v13, v86, v93
	;; [unrolled: 1-line block ×20, first 2 shown]
	v_fma_f32 v44, v86, 2.0, -v13
	v_fma_f32 v45, v87, 2.0, -v14
	;; [unrolled: 1-line block ×6, first 2 shown]
	v_add_f32_e32 v0, v13, v0
	v_sub_f32_e32 v1, v14, v2
	v_fma_f32 v27, v94, 2.0, -v5
	v_fma_f32 v31, v49, 2.0, -v6
	;; [unrolled: 1-line block ×10, first 2 shown]
	v_add_f32_e32 v2, v26, v6
	v_sub_f32_e32 v3, v28, v5
	v_add_f32_e32 v4, v29, v11
	v_sub_f32_e32 v5, v30, v10
	v_fma_f32 v57, v98, 2.0, -v15
	v_fma_f32 v58, v8, 2.0, -v12
	v_add_f32_e32 v6, v32, v12
	v_sub_f32_e32 v7, v33, v15
	v_fma_f32 v59, v100, 2.0, -v17
	v_fma_f32 v60, v9, 2.0, -v18
	v_sub_f32_e32 v10, v44, v19
	v_sub_f32_e32 v11, v45, v16
	v_fma_f32 v12, v13, 2.0, -v0
	v_fma_f32 v13, v14, 2.0, -v1
	v_sub_f32_e32 v14, v46, v27
	v_sub_f32_e32 v15, v47, v31
	v_add_f32_e32 v8, v34, v18
	v_sub_f32_e32 v18, v50, v49
	v_sub_f32_e32 v19, v51, v53
	;; [unrolled: 1-line block ×3, first 2 shown]
	v_fma_f32 v16, v26, 2.0, -v2
	v_fma_f32 v17, v28, 2.0, -v3
	;; [unrolled: 1-line block ×4, first 2 shown]
	v_sub_f32_e32 v28, v52, v57
	v_sub_f32_e32 v29, v54, v58
	v_fma_f32 v30, v32, 2.0, -v6
	v_fma_f32 v31, v33, 2.0, -v7
	v_sub_f32_e32 v32, v55, v59
	v_sub_f32_e32 v33, v56, v60
	v_fma_f32 v44, v44, 2.0, -v10
	v_fma_f32 v45, v45, 2.0, -v11
	;; [unrolled: 1-line block ×12, first 2 shown]
	ds_write2_b64 v89, v[10:11], v[0:1] offset0:20 offset1:30
	ds_write2_b64 v89, v[44:45], v[12:13] offset1:10
	ds_write2_b64 v24, v[46:47], v[16:17] offset1:10
	ds_write2_b64 v24, v[14:15], v[2:3] offset0:20 offset1:30
	ds_write2_b64 v90, v[49:50], v[26:27] offset1:10
	ds_write2_b64 v90, v[18:19], v[4:5] offset0:20 offset1:30
	;; [unrolled: 2-line block ×4, first 2 shown]
	v_add_co_u32 v26, s0, s8, v82
	v_add_co_ci_u32_e64 v27, s0, s9, v83, s0
	s_waitcnt lgkmcnt(0)
	s_barrier
	buffer_gl0_inv
	s_clause 0x1
	global_load_dwordx4 v[0:3], v88, s[8:9] offset:240
	global_load_dwordx4 v[4:7], v88, s[8:9] offset:624
	v_add_nc_u32_e32 v24, 0xc0, v88
	v_add_nc_u32_e32 v28, 0x240, v88
	s_clause 0x7
	global_load_dwordx4 v[8:11], v[26:27], off offset:240
	global_load_dwordx4 v[12:15], v24, s[8:9] offset:240
	global_load_dwordx4 v[16:19], v28, s[8:9] offset:240
	global_load_dwordx2 v[34:35], v88, s[8:9] offset:256
	global_load_dwordx2 v[71:72], v88, s[8:9] offset:640
	global_load_dwordx2 v[73:74], v[26:27], off offset:256
	global_load_dwordx2 v[75:76], v24, s[8:9] offset:256
	global_load_dwordx2 v[77:78], v28, s[8:9] offset:256
	v_cmp_lt_u32_e64 s0, 39, v43
	ds_read2_b64 v[26:29], v40 offset0:80 offset1:96
	ds_read2_b64 v[30:33], v40 offset0:144 offset1:160
	v_lshlrev_b32_e32 v47, 3, v48
	ds_read2_b64 v[43:46], v40 offset0:176 offset1:192
	v_cndmask_b32_e64 v24, 0, 0x500, s0
	v_add_nc_u32_e32 v24, 0, v24
	v_add3_u32 v24, v24, v47, v39
	ds_read2_b64 v[47:50], v42 offset0:112 offset1:128
	ds_read2_b64 v[51:54], v40 offset0:112 offset1:128
	;; [unrolled: 1-line block ×4, first 2 shown]
	ds_read_b64 v[79:80], v40 offset:2432
	ds_read_b64 v[81:82], v36
	ds_read2_b64 v[63:66], v40 offset0:16 offset1:32
	ds_read2_b64 v[67:70], v40 offset0:48 offset1:64
	s_waitcnt vmcnt(0) lgkmcnt(0)
	s_barrier
	buffer_gl0_inv
	v_mul_f32_e32 v39, v1, v27
	v_mul_f32_e32 v1, v1, v26
	;; [unrolled: 1-line block ×27, first 2 shown]
	v_fmac_f32_e32 v39, v0, v26
	v_fma_f32 v0, v0, v27, -v1
	v_fmac_f32_e32 v83, v2, v32
	v_fma_f32 v1, v2, v33, -v3
	v_mul_f32_e32 v2, v61, v76
	v_mul_f32_e32 v3, v80, v78
	;; [unrolled: 1-line block ×3, first 2 shown]
	v_fmac_f32_e32 v84, v4, v28
	v_fma_f32 v4, v4, v29, -v5
	v_fmac_f32_e32 v85, v43, v6
	v_fma_f32 v5, v44, v6, -v7
	;; [unrolled: 2-line block ×13, first 2 shown]
	v_sub_f32_e32 v16, v81, v83
	v_sub_f32_e32 v17, v82, v1
	;; [unrolled: 1-line block ×20, first 2 shown]
	v_fma_f32 v43, v81, 2.0, -v16
	v_fma_f32 v44, v82, 2.0, -v17
	;; [unrolled: 1-line block ×8, first 2 shown]
	v_add_f32_e32 v0, v16, v12
	v_sub_f32_e32 v1, v17, v1
	v_add_f32_e32 v2, v18, v13
	v_sub_f32_e32 v3, v19, v5
	v_fma_f32 v47, v65, 2.0, -v26
	v_fma_f32 v48, v66, 2.0, -v27
	;; [unrolled: 1-line block ×12, first 2 shown]
	v_add_f32_e32 v4, v26, v14
	v_sub_f32_e32 v7, v31, v9
	v_add_f32_e32 v8, v34, v15
	v_sub_f32_e32 v9, v35, v11
	v_sub_f32_e32 v10, v43, v29
	v_sub_f32_e32 v11, v44, v32
	v_sub_f32_e32 v14, v39, v33
	v_sub_f32_e32 v15, v45, v46
	v_sub_f32_e32 v5, v27, v6
	v_fma_f32 v12, v16, 2.0, -v0
	v_fma_f32 v13, v17, 2.0, -v1
	;; [unrolled: 1-line block ×4, first 2 shown]
	v_sub_f32_e32 v18, v47, v49
	v_sub_f32_e32 v19, v48, v50
	v_add_f32_e32 v6, v30, v28
	v_sub_f32_e32 v28, v51, v53
	v_sub_f32_e32 v29, v52, v54
	;; [unrolled: 1-line block ×4, first 2 shown]
	ds_write2_b64 v40, v[0:1], v[2:3] offset0:120 offset1:136
	v_fma_f32 v0, v43, 2.0, -v10
	v_fma_f32 v1, v44, 2.0, -v11
	;; [unrolled: 1-line block ×16, first 2 shown]
	ds_write2_b64 v40, v[12:13], v[16:17] offset0:40 offset1:56
	ds_write2_b64 v40, v[10:11], v[14:15] offset0:80 offset1:96
	ds_write2_b64 v40, v[0:1], v[2:3] offset1:16
	ds_write2_b64 v24, v[43:44], v[26:27] offset1:40
	ds_write2_b64 v24, v[18:19], v[4:5] offset0:80 offset1:120
	ds_write2_b64 v40, v[45:46], v[47:48] offset0:168 offset1:184
	;; [unrolled: 1-line block ×5, first 2 shown]
	v_add_co_u32 v0, s0, s8, v37
	v_add_co_ci_u32_e64 v1, null, s9, 0, s0
	s_waitcnt lgkmcnt(0)
	v_add_co_u32 v0, s0, 0x800, v0
	v_add_co_ci_u32_e64 v1, s0, 0, v1, s0
	s_barrier
	buffer_gl0_inv
	s_clause 0x9
	global_load_dwordx2 v[46:47], v37, s[8:9] offset:1328
	global_load_dwordx2 v[48:49], v37, s[8:9] offset:1456
	;; [unrolled: 1-line block ×7, first 2 shown]
	global_load_dwordx2 v[58:59], v[0:1], off offset:48
	global_load_dwordx2 v[60:61], v[0:1], off offset:176
	;; [unrolled: 1-line block ×3, first 2 shown]
	ds_read2_b64 v[0:3], v40 offset0:176 offset1:192
	ds_read2_b64 v[4:7], v40 offset0:208 offset1:224
	;; [unrolled: 1-line block ×3, first 2 shown]
	ds_read_b64 v[64:65], v36
	ds_read2_b64 v[12:15], v40 offset0:144 offset1:160
	ds_read2_b64 v[16:19], v40 offset0:16 offset1:32
	;; [unrolled: 1-line block ×4, first 2 shown]
	ds_read_b64 v[66:67], v40 offset:2432
	ds_read2_b64 v[34:37], v40 offset0:80 offset1:96
	ds_read2_b64 v[42:45], v40 offset0:112 offset1:128
	s_waitcnt vmcnt(0) lgkmcnt(0)
	s_barrier
	buffer_gl0_inv
	v_mul_f32_e32 v68, v49, v3
	v_mul_f32_e32 v49, v49, v2
	;; [unrolled: 1-line block ×20, first 2 shown]
	v_fmac_f32_e32 v24, v46, v0
	v_fma_f32 v46, v46, v1, -v47
	v_fmac_f32_e32 v68, v48, v2
	v_fma_f32 v47, v48, v3, -v49
	;; [unrolled: 2-line block ×10, first 2 shown]
	v_sub_f32_e32 v0, v64, v73
	v_sub_f32_e32 v1, v65, v1
	;; [unrolled: 1-line block ×20, first 2 shown]
	v_fma_f32 v46, v64, 2.0, -v0
	v_fma_f32 v47, v65, 2.0, -v1
	;; [unrolled: 1-line block ×20, first 2 shown]
	ds_write2_b64 v40, v[0:1], v[2:3] offset0:160 offset1:176
	ds_write2_b64 v40, v[4:5], v[6:7] offset0:192 offset1:208
	;; [unrolled: 1-line block ×3, first 2 shown]
	ds_write2_b64 v41, v[14:15], v[30:31] offset1:16
	ds_write2_b64 v41, v[32:33], v[38:39] offset0:32 offset1:48
	ds_write2_b64 v40, v[46:47], v[16:17] offset1:16
	ds_write2_b64 v40, v[18:19], v[26:27] offset0:32 offset1:48
	ds_write2_b64 v40, v[28:29], v[34:35] offset0:64 offset1:80
	;; [unrolled: 1-line block ×4, first 2 shown]
	s_waitcnt lgkmcnt(0)
	s_barrier
	buffer_gl0_inv
	s_and_saveexec_b32 s0, vcc_lo
	s_cbranch_execz .LBB0_19
; %bb.18:
	v_lshl_add_u32 v16, v20, 3, v21
	v_mov_b32_e32 v21, v25
	v_add_nc_u32_e32 v24, 16, v20
	ds_read2_b64 v[0:3], v16 offset1:16
	ds_read2_b64 v[4:7], v16 offset0:32 offset1:48
	v_lshlrev_b64 v[8:9], 3, v[20:21]
	v_add_co_u32 v21, vcc_lo, s2, v22
	v_lshlrev_b64 v[10:11], 3, v[24:25]
	v_add_nc_u32_e32 v24, 32, v20
	v_add_co_ci_u32_e32 v22, vcc_lo, s3, v23, vcc_lo
	v_add_co_u32 v8, vcc_lo, v21, v8
	v_lshlrev_b64 v[12:13], 3, v[24:25]
	v_add_co_ci_u32_e32 v9, vcc_lo, v22, v9, vcc_lo
	v_add_co_u32 v10, vcc_lo, v21, v10
	v_add_co_ci_u32_e32 v11, vcc_lo, v22, v11, vcc_lo
	v_add_nc_u32_e32 v24, 48, v20
	v_add_co_u32 v12, vcc_lo, v21, v12
	v_add_co_ci_u32_e32 v13, vcc_lo, v22, v13, vcc_lo
	v_lshlrev_b64 v[14:15], 3, v[24:25]
	v_add_nc_u32_e32 v24, 64, v20
	s_waitcnt lgkmcnt(1)
	global_store_dwordx2 v[8:9], v[0:1], off
	global_store_dwordx2 v[10:11], v[2:3], off
	s_waitcnt lgkmcnt(0)
	global_store_dwordx2 v[12:13], v[4:5], off
	ds_read2_b64 v[0:3], v16 offset0:64 offset1:80
	v_lshlrev_b64 v[4:5], 3, v[24:25]
	v_add_nc_u32_e32 v24, 0x50, v20
	v_add_co_u32 v8, vcc_lo, v21, v14
	v_add_co_ci_u32_e32 v9, vcc_lo, v22, v15, vcc_lo
	v_lshlrev_b64 v[10:11], 3, v[24:25]
	v_add_co_u32 v4, vcc_lo, v21, v4
	v_add_co_ci_u32_e32 v5, vcc_lo, v22, v5, vcc_lo
	v_add_nc_u32_e32 v24, 0x60, v20
	v_add_co_u32 v10, vcc_lo, v21, v10
	v_add_co_ci_u32_e32 v11, vcc_lo, v22, v11, vcc_lo
	v_lshlrev_b64 v[12:13], 3, v[24:25]
	v_add_nc_u32_e32 v24, 0x70, v20
	global_store_dwordx2 v[8:9], v[6:7], off
	s_waitcnt lgkmcnt(0)
	global_store_dwordx2 v[4:5], v[0:1], off
	global_store_dwordx2 v[10:11], v[2:3], off
	ds_read2_b64 v[0:3], v16 offset0:96 offset1:112
	ds_read2_b64 v[4:7], v16 offset0:128 offset1:144
	v_lshlrev_b64 v[8:9], 3, v[24:25]
	v_add_nc_u32_e32 v24, 0x80, v20
	v_add_co_u32 v10, vcc_lo, v21, v12
	v_add_co_ci_u32_e32 v11, vcc_lo, v22, v13, vcc_lo
	v_lshlrev_b64 v[12:13], 3, v[24:25]
	v_add_co_u32 v8, vcc_lo, v21, v8
	v_add_co_ci_u32_e32 v9, vcc_lo, v22, v9, vcc_lo
	v_add_nc_u32_e32 v24, 0x90, v20
	v_add_co_u32 v12, vcc_lo, v21, v12
	v_add_co_ci_u32_e32 v13, vcc_lo, v22, v13, vcc_lo
	v_lshlrev_b64 v[14:15], 3, v[24:25]
	v_add_nc_u32_e32 v24, 0xa0, v20
	s_waitcnt lgkmcnt(1)
	global_store_dwordx2 v[10:11], v[0:1], off
	global_store_dwordx2 v[8:9], v[2:3], off
	s_waitcnt lgkmcnt(0)
	global_store_dwordx2 v[12:13], v[4:5], off
	ds_read2_b64 v[0:3], v16 offset0:160 offset1:176
	v_lshlrev_b64 v[4:5], 3, v[24:25]
	v_add_nc_u32_e32 v24, 0xb0, v20
	v_add_co_u32 v8, vcc_lo, v21, v14
	v_add_co_ci_u32_e32 v9, vcc_lo, v22, v15, vcc_lo
	v_lshlrev_b64 v[10:11], 3, v[24:25]
	v_add_co_u32 v4, vcc_lo, v21, v4
	v_add_co_ci_u32_e32 v5, vcc_lo, v22, v5, vcc_lo
	v_add_nc_u32_e32 v24, 0xc0, v20
	v_add_co_u32 v10, vcc_lo, v21, v10
	v_add_co_ci_u32_e32 v11, vcc_lo, v22, v11, vcc_lo
	v_lshlrev_b64 v[12:13], 3, v[24:25]
	v_add_nc_u32_e32 v24, 0xd0, v20
	global_store_dwordx2 v[8:9], v[6:7], off
	s_waitcnt lgkmcnt(0)
	global_store_dwordx2 v[4:5], v[0:1], off
	global_store_dwordx2 v[10:11], v[2:3], off
	ds_read2_b64 v[0:3], v16 offset0:192 offset1:208
	ds_read2_b64 v[4:7], v16 offset0:224 offset1:240
	v_lshlrev_b64 v[8:9], 3, v[24:25]
	v_add_nc_u32_e32 v24, 0xe0, v20
	v_add_co_u32 v10, vcc_lo, v21, v12
	v_add_co_ci_u32_e32 v11, vcc_lo, v22, v13, vcc_lo
	v_lshlrev_b64 v[12:13], 3, v[24:25]
	v_add_nc_u32_e32 v24, 0xf0, v20
	v_add_co_u32 v8, vcc_lo, v21, v8
	v_add_co_ci_u32_e32 v9, vcc_lo, v22, v9, vcc_lo
	v_add_co_u32 v12, vcc_lo, v21, v12
	v_lshlrev_b64 v[14:15], 3, v[24:25]
	v_add_nc_u32_e32 v24, 0x100, v20
	v_add_co_ci_u32_e32 v13, vcc_lo, v22, v13, vcc_lo
	s_waitcnt lgkmcnt(1)
	global_store_dwordx2 v[10:11], v[0:1], off
	global_store_dwordx2 v[8:9], v[2:3], off
	s_waitcnt lgkmcnt(0)
	global_store_dwordx2 v[12:13], v[4:5], off
	v_add_nc_u32_e32 v8, 0x800, v16
	v_lshlrev_b64 v[4:5], 3, v[24:25]
	v_add_nc_u32_e32 v24, 0x110, v20
	v_add_co_u32 v12, vcc_lo, v21, v14
	v_add_co_ci_u32_e32 v13, vcc_lo, v22, v15, vcc_lo
	ds_read2_b64 v[0:3], v8 offset1:16
	v_lshlrev_b64 v[14:15], 3, v[24:25]
	v_add_nc_u32_e32 v24, 0x120, v20
	ds_read2_b64 v[8:11], v8 offset0:32 offset1:48
	v_add_co_u32 v4, vcc_lo, v21, v4
	v_add_co_ci_u32_e32 v5, vcc_lo, v22, v5, vcc_lo
	v_lshlrev_b64 v[16:17], 3, v[24:25]
	v_add_nc_u32_e32 v24, 0x130, v20
	v_add_co_u32 v14, vcc_lo, v21, v14
	v_add_co_ci_u32_e32 v15, vcc_lo, v22, v15, vcc_lo
	v_lshlrev_b64 v[18:19], 3, v[24:25]
	v_add_co_u32 v16, vcc_lo, v21, v16
	v_add_co_ci_u32_e32 v17, vcc_lo, v22, v17, vcc_lo
	v_add_co_u32 v18, vcc_lo, v21, v18
	v_add_co_ci_u32_e32 v19, vcc_lo, v22, v19, vcc_lo
	global_store_dwordx2 v[12:13], v[6:7], off
	s_waitcnt lgkmcnt(1)
	global_store_dwordx2 v[4:5], v[0:1], off
	global_store_dwordx2 v[14:15], v[2:3], off
	s_waitcnt lgkmcnt(0)
	global_store_dwordx2 v[16:17], v[8:9], off
	global_store_dwordx2 v[18:19], v[10:11], off
.LBB0_19:
	s_endpgm
	.section	.rodata,"a",@progbits
	.p2align	6, 0x0
	.amdhsa_kernel fft_rtc_back_len320_factors_10_4_4_2_wgs_64_tpt_16_halfLds_sp_ip_CI_unitstride_sbrr_C2R_dirReg
		.amdhsa_group_segment_fixed_size 0
		.amdhsa_private_segment_fixed_size 0
		.amdhsa_kernarg_size 88
		.amdhsa_user_sgpr_count 6
		.amdhsa_user_sgpr_private_segment_buffer 1
		.amdhsa_user_sgpr_dispatch_ptr 0
		.amdhsa_user_sgpr_queue_ptr 0
		.amdhsa_user_sgpr_kernarg_segment_ptr 1
		.amdhsa_user_sgpr_dispatch_id 0
		.amdhsa_user_sgpr_flat_scratch_init 0
		.amdhsa_user_sgpr_private_segment_size 0
		.amdhsa_wavefront_size32 1
		.amdhsa_uses_dynamic_stack 0
		.amdhsa_system_sgpr_private_segment_wavefront_offset 0
		.amdhsa_system_sgpr_workgroup_id_x 1
		.amdhsa_system_sgpr_workgroup_id_y 0
		.amdhsa_system_sgpr_workgroup_id_z 0
		.amdhsa_system_sgpr_workgroup_info 0
		.amdhsa_system_vgpr_workitem_id 0
		.amdhsa_next_free_vgpr 111
		.amdhsa_next_free_sgpr 21
		.amdhsa_reserve_vcc 1
		.amdhsa_reserve_flat_scratch 0
		.amdhsa_float_round_mode_32 0
		.amdhsa_float_round_mode_16_64 0
		.amdhsa_float_denorm_mode_32 3
		.amdhsa_float_denorm_mode_16_64 3
		.amdhsa_dx10_clamp 1
		.amdhsa_ieee_mode 1
		.amdhsa_fp16_overflow 0
		.amdhsa_workgroup_processor_mode 1
		.amdhsa_memory_ordered 1
		.amdhsa_forward_progress 0
		.amdhsa_shared_vgpr_count 0
		.amdhsa_exception_fp_ieee_invalid_op 0
		.amdhsa_exception_fp_denorm_src 0
		.amdhsa_exception_fp_ieee_div_zero 0
		.amdhsa_exception_fp_ieee_overflow 0
		.amdhsa_exception_fp_ieee_underflow 0
		.amdhsa_exception_fp_ieee_inexact 0
		.amdhsa_exception_int_div_zero 0
	.end_amdhsa_kernel
	.text
.Lfunc_end0:
	.size	fft_rtc_back_len320_factors_10_4_4_2_wgs_64_tpt_16_halfLds_sp_ip_CI_unitstride_sbrr_C2R_dirReg, .Lfunc_end0-fft_rtc_back_len320_factors_10_4_4_2_wgs_64_tpt_16_halfLds_sp_ip_CI_unitstride_sbrr_C2R_dirReg
                                        ; -- End function
	.section	.AMDGPU.csdata,"",@progbits
; Kernel info:
; codeLenInByte = 9280
; NumSgprs: 23
; NumVgprs: 111
; ScratchSize: 0
; MemoryBound: 0
; FloatMode: 240
; IeeeMode: 1
; LDSByteSize: 0 bytes/workgroup (compile time only)
; SGPRBlocks: 2
; VGPRBlocks: 13
; NumSGPRsForWavesPerEU: 23
; NumVGPRsForWavesPerEU: 111
; Occupancy: 9
; WaveLimiterHint : 1
; COMPUTE_PGM_RSRC2:SCRATCH_EN: 0
; COMPUTE_PGM_RSRC2:USER_SGPR: 6
; COMPUTE_PGM_RSRC2:TRAP_HANDLER: 0
; COMPUTE_PGM_RSRC2:TGID_X_EN: 1
; COMPUTE_PGM_RSRC2:TGID_Y_EN: 0
; COMPUTE_PGM_RSRC2:TGID_Z_EN: 0
; COMPUTE_PGM_RSRC2:TIDIG_COMP_CNT: 0
	.text
	.p2alignl 6, 3214868480
	.fill 48, 4, 3214868480
	.type	__hip_cuid_a2e7e951de943274,@object ; @__hip_cuid_a2e7e951de943274
	.section	.bss,"aw",@nobits
	.globl	__hip_cuid_a2e7e951de943274
__hip_cuid_a2e7e951de943274:
	.byte	0                               ; 0x0
	.size	__hip_cuid_a2e7e951de943274, 1

	.ident	"AMD clang version 19.0.0git (https://github.com/RadeonOpenCompute/llvm-project roc-6.4.0 25133 c7fe45cf4b819c5991fe208aaa96edf142730f1d)"
	.section	".note.GNU-stack","",@progbits
	.addrsig
	.addrsig_sym __hip_cuid_a2e7e951de943274
	.amdgpu_metadata
---
amdhsa.kernels:
  - .args:
      - .actual_access:  read_only
        .address_space:  global
        .offset:         0
        .size:           8
        .value_kind:     global_buffer
      - .offset:         8
        .size:           8
        .value_kind:     by_value
      - .actual_access:  read_only
        .address_space:  global
        .offset:         16
        .size:           8
        .value_kind:     global_buffer
      - .actual_access:  read_only
        .address_space:  global
        .offset:         24
        .size:           8
        .value_kind:     global_buffer
      - .offset:         32
        .size:           8
        .value_kind:     by_value
      - .actual_access:  read_only
        .address_space:  global
        .offset:         40
        .size:           8
        .value_kind:     global_buffer
      - .actual_access:  read_only
        .address_space:  global
        .offset:         48
        .size:           8
        .value_kind:     global_buffer
      - .offset:         56
        .size:           4
        .value_kind:     by_value
      - .actual_access:  read_only
        .address_space:  global
        .offset:         64
        .size:           8
        .value_kind:     global_buffer
      - .actual_access:  read_only
        .address_space:  global
        .offset:         72
        .size:           8
        .value_kind:     global_buffer
      - .address_space:  global
        .offset:         80
        .size:           8
        .value_kind:     global_buffer
    .group_segment_fixed_size: 0
    .kernarg_segment_align: 8
    .kernarg_segment_size: 88
    .language:       OpenCL C
    .language_version:
      - 2
      - 0
    .max_flat_workgroup_size: 64
    .name:           fft_rtc_back_len320_factors_10_4_4_2_wgs_64_tpt_16_halfLds_sp_ip_CI_unitstride_sbrr_C2R_dirReg
    .private_segment_fixed_size: 0
    .sgpr_count:     23
    .sgpr_spill_count: 0
    .symbol:         fft_rtc_back_len320_factors_10_4_4_2_wgs_64_tpt_16_halfLds_sp_ip_CI_unitstride_sbrr_C2R_dirReg.kd
    .uniform_work_group_size: 1
    .uses_dynamic_stack: false
    .vgpr_count:     111
    .vgpr_spill_count: 0
    .wavefront_size: 32
    .workgroup_processor_mode: 1
amdhsa.target:   amdgcn-amd-amdhsa--gfx1030
amdhsa.version:
  - 1
  - 2
...

	.end_amdgpu_metadata
